;; amdgpu-corpus repo=ROCm/rocFFT kind=compiled arch=gfx1201 opt=O3
	.text
	.amdgcn_target "amdgcn-amd-amdhsa--gfx1201"
	.amdhsa_code_object_version 6
	.protected	fft_rtc_fwd_len1331_factors_11_11_11_wgs_121_tpt_121_half_op_CI_CI_sbrc_erc_z_xy_aligned_dirReg ; -- Begin function fft_rtc_fwd_len1331_factors_11_11_11_wgs_121_tpt_121_half_op_CI_CI_sbrc_erc_z_xy_aligned_dirReg
	.globl	fft_rtc_fwd_len1331_factors_11_11_11_wgs_121_tpt_121_half_op_CI_CI_sbrc_erc_z_xy_aligned_dirReg
	.p2align	8
	.type	fft_rtc_fwd_len1331_factors_11_11_11_wgs_121_tpt_121_half_op_CI_CI_sbrc_erc_z_xy_aligned_dirReg,@function
fft_rtc_fwd_len1331_factors_11_11_11_wgs_121_tpt_121_half_op_CI_CI_sbrc_erc_z_xy_aligned_dirReg: ; @fft_rtc_fwd_len1331_factors_11_11_11_wgs_121_tpt_121_half_op_CI_CI_sbrc_erc_z_xy_aligned_dirReg
; %bb.0:
	s_load_b256 s[8:15], s[0:1], 0x0
	v_dual_mov_b32 v1, 0x16b :: v_dual_mov_b32 v2, 0
	v_cmp_gt_u32_e32 vcc_lo, 0x3c8, v0
	v_add_nc_u32_e32 v19, 0x79, v0
	v_add_nc_u32_e32 v20, 0xf2, v0
	s_mov_b32 s25, 0
	v_cndmask_b32_e32 v1, 0xfffffc38, v1, vcc_lo
	v_mov_b32_e32 v3, 0x1e4
	v_cmp_gt_u32_e32 vcc_lo, 0x34f, v0
	s_mov_b32 s27, s25
	s_mov_b32 s29, s25
	s_wait_alu 0xfffd
	v_dual_cndmask_b32 v3, 0xfffffcb1, v3 :: v_dual_add_nc_u32 v30, v0, v1
	v_mov_b32_e32 v4, 0x25d
	v_cmp_gt_u32_e32 vcc_lo, 0x2d6, v0
	s_delay_alu instid0(VALU_DEP_3)
	v_add_nc_u32_e32 v31, v0, v3
	s_wait_kmcnt 0x0
	s_load_b128 s[4:7], s[12:13], 0x8
	s_clause 0x1
	s_load_b128 s[16:19], s[0:1], 0x58
	s_load_b64 s[30:31], s[0:1], 0x20
	s_load_b128 s[20:23], s[14:15], 0x0
	v_cndmask_b32_e32 v4, 0xfffffd2a, v4, vcc_lo
	v_mov_b32_e32 v5, 0x2d6
	v_cmp_gt_u32_e32 vcc_lo, 0x25d, v0
	s_wait_kmcnt 0x0
	s_load_b32 s5, s[14:15], 0x10
	s_delay_alu instid0(VALU_DEP_2)
	v_dual_cndmask_b32 v23, 0xfffffda3, v5 :: v_dual_add_nc_u32 v32, v0, v4
	v_cmp_lt_u32_e32 vcc_lo, 0x3c7, v0
	s_mul_i32 s0, s6, s4
	s_cvt_f32_u32 s2, s4
	s_cvt_f32_u32 s1, s0
	s_sub_co_i32 s3, 0, s0
	v_mad_co_u64_u32 v[3:4], null, s20, v0, 0
	s_delay_alu instid0(SALU_CYCLE_1)
	v_rcp_iflag_f32_e32 v6, s1
	v_rcp_iflag_f32_e32 v13, s2
	v_mad_co_u64_u32 v[7:8], null, s20, v20, 0
	v_mad_co_u64_u32 v[9:10], null, s20, v30, 0
	;; [unrolled: 1-line block ×3, first 2 shown]
	s_wait_alu 0xfffd
	v_cndmask_b32_e64 v1, 0, s22, vcc_lo
	s_delay_alu instid0(TRANS32_DEP_2) | instskip(SKIP_1) | instid1(VALU_DEP_3)
	v_readfirstlane_b32 s1, v6
	v_mad_co_u64_u32 v[5:6], null, s20, v19, 0
	v_lshlrev_b64_e32 v[15:16], 2, v[1:2]
	s_delay_alu instid0(VALU_DEP_3) | instskip(NEXT) | instid1(VALU_DEP_2)
	s_mul_f32 s1, s1, 0x4f7ffffe
	v_mad_co_u64_u32 v[17:18], null, s21, v0, v[4:5]
	s_wait_alu 0xfffe
	s_delay_alu instid0(SALU_CYCLE_1) | instskip(SKIP_1) | instid1(SALU_CYCLE_2)
	s_cvt_u32_f32 s1, s1
	s_wait_alu 0xfffe
	s_mul_i32 s3, s3, s1
	s_wait_alu 0xfffe
	s_mul_hi_u32 s2, s1, s3
	v_readfirstlane_b32 s3, v13
	s_wait_alu 0xfffe
	s_add_co_i32 s1, s1, s2
	v_mov_b32_e32 v4, v17
	s_wait_alu 0xfffe
	s_mul_hi_u32 s1, ttmp9, s1
	v_mad_co_u64_u32 v[18:19], null, s21, v19, v[6:7]
	s_wait_alu 0xfffe
	s_mul_i32 s2, s1, s0
	s_add_co_i32 s6, s1, 1
	s_wait_alu 0xfffe
	s_sub_co_i32 s2, ttmp9, s2
	s_mul_f32 s3, s3, 0x4f7ffffe
	s_wait_alu 0xfffe
	s_sub_co_i32 s7, s2, s0
	s_cmp_ge_u32 s2, s0
	v_mad_co_u64_u32 v[13:14], null, s20, v32, 0
	s_cselect_b32 s1, s6, s1
	s_cselect_b32 s2, s7, s2
	s_wait_alu 0xfffe
	s_add_co_i32 s6, s1, 1
	s_cmp_ge_u32 s2, s0
	s_cvt_u32_f32 s2, s3
	s_cselect_b32 s26, s6, s1
	s_sub_co_i32 s1, 0, s4
	s_mul_i32 s0, s26, s0
	s_wait_alu 0xfffe
	s_mul_i32 s1, s1, s2
	s_sub_co_i32 s3, ttmp9, s0
	s_wait_alu 0xfffe
	s_mul_hi_u32 s1, s2, s1
	v_mad_co_u64_u32 v[19:20], null, s21, v20, v[8:9]
	s_wait_alu 0xfffe
	s_add_co_i32 s2, s2, s1
	v_mad_co_u64_u32 v[20:21], null, s21, v30, v[10:11]
	s_wait_alu 0xfffe
	s_mul_hi_u32 s1, s3, s2
	s_mul_hi_u32 s2, ttmp9, s2
	s_wait_alu 0xfffe
	s_mul_i32 s6, s1, s4
	s_mul_i32 s2, s2, s4
	s_sub_co_i32 s3, s3, s6
	s_add_co_i32 s6, s1, 1
	v_mov_b32_e32 v10, v20
	s_wait_alu 0xfffe
	s_sub_co_i32 s7, s3, s4
	s_cmp_ge_u32 s3, s4
	v_mov_b32_e32 v6, v18
	s_cselect_b32 s1, s6, s1
	s_cselect_b32 s3, s7, s3
	s_wait_alu 0xfffe
	s_add_co_i32 s6, s1, 1
	s_cmp_ge_u32 s3, s4
	v_mad_co_u64_u32 v[21:22], null, s21, v31, v[12:13]
	s_cselect_b32 s23, s6, s1
	s_sub_co_i32 s1, ttmp9, s2
	v_lshlrev_b64_e32 v[3:4], 2, v[3:4]
	s_wait_alu 0xfffe
	s_sub_co_i32 s2, s1, s4
	s_cmp_ge_u32 s1, s4
	v_mov_b32_e32 v8, v19
	s_wait_alu 0xfffe
	s_cselect_b32 s1, s2, s1
	v_lshlrev_b64_e32 v[5:6], 2, v[5:6]
	s_wait_alu 0xfffe
	s_sub_co_i32 s2, s1, s4
	s_cmp_ge_u32 s1, s4
	v_cmp_lt_u32_e64 s0, 0x34e, v0
	s_wait_alu 0xfffe
	s_cselect_b32 s28, s2, s1
	s_lshl_b64 s[34:35], s[10:11], 3
	s_mul_i32 s4, s28, s22
	s_add_nc_u64 s[2:3], s[14:15], s[34:35]
	v_lshlrev_b64_e32 v[7:8], 2, v[7:8]
	s_load_b64 s[2:3], s[2:3], 0x0
	s_wait_kmcnt 0x0
	s_mul_i32 s1, s23, s5
	v_dual_mov_b32 v12, v21 :: v_dual_mov_b32 v19, 0x34f
	s_wait_alu 0xfffe
	s_add_co_i32 s24, s4, s1
	v_lshlrev_b64_e32 v[9:10], 2, v[9:10]
	s_lshl_b64 s[4:5], s[24:25], 2
	v_cndmask_b32_e64 v1, 0, s22, s0
	v_lshlrev_b64_e32 v[11:12], 2, v[11:12]
	v_add_nc_u32_e32 v33, v0, v23
	s_delay_alu instid0(VALU_DEP_3)
	v_lshlrev_b64_e32 v[22:23], 2, v[1:2]
	s_mul_u64 s[2:3], s[2:3], s[26:27]
	s_wait_alu 0xfffe
	s_lshl_b64 s[2:3], s[2:3], 2
	s_wait_alu 0xfffe
	s_add_nc_u64 s[2:3], s[16:17], s[2:3]
	s_wait_alu 0xfffe
	s_add_nc_u64 s[10:11], s[2:3], s[4:5]
	v_cmp_gt_u32_e64 s2, 0x1e4, v0
	v_add_co_u32 v3, s1, s10, v3
	s_wait_alu 0xf1ff
	v_add_co_ci_u32_e64 v4, s1, s11, v4, s1
	v_add_co_u32 v5, s1, s10, v5
	s_wait_alu 0xf1ff
	v_add_co_ci_u32_e64 v6, s1, s11, v6, s1
	;; [unrolled: 3-line block ×4, first 2 shown]
	v_add_co_u32 v18, s1, s10, v11
	v_mad_co_u64_u32 v[9:10], null, s21, v32, v[14:15]
	s_wait_alu 0xf1ff
	v_add_co_ci_u32_e64 v12, s1, s11, v12, s1
	v_mad_co_u64_u32 v[10:11], null, s20, v33, 0
	v_add_co_u32 v15, s1, v1, v15
	s_wait_alu 0xf1ff
	v_add_co_ci_u32_e64 v16, s1, v17, v16, s1
	v_add_co_u32 v17, s1, v18, v22
	s_wait_alu 0xf1ff
	v_add_co_ci_u32_e64 v18, s1, v12, v23, s1
	v_mov_b32_e32 v14, v9
	v_cmp_lt_u32_e64 s1, 0x2d5, v0
	v_mov_b32_e32 v9, v11
	v_mov_b32_e32 v23, 0x4ba
	v_cmp_gt_u32_e64 s4, 0x79, v0
	v_lshlrev_b64_e32 v[11:12], 2, v[13:14]
	s_wait_alu 0xf1ff
	v_cndmask_b32_e64 v1, 0, s22, s1
	v_mad_co_u64_u32 v[13:14], null, s21, v33, v[9:10]
	v_cndmask_b32_e64 v9, 0xfffffe1c, v19, s2
	s_delay_alu instid0(VALU_DEP_3) | instskip(SKIP_1) | instid1(VALU_DEP_3)
	v_lshlrev_b64_e32 v[19:20], 2, v[1:2]
	v_add_co_u32 v14, s2, s10, v11
	v_add_nc_u32_e32 v34, v0, v9
	s_wait_alu 0xf1ff
	v_add_co_ci_u32_e64 v21, s2, s11, v12, s2
	v_mov_b32_e32 v11, v13
	v_cmp_lt_u32_e64 s2, 0x25c, v0
	v_mad_co_u64_u32 v[12:13], null, s20, v34, 0
	v_add_co_u32 v19, s3, v14, v19
	s_wait_alu 0xf1ff
	v_add_co_ci_u32_e64 v20, s3, v21, v20, s3
	v_cndmask_b32_e64 v1, 0, s22, s2
	v_mov_b32_e32 v14, 0x3c8
	v_lshlrev_b64_e32 v[9:10], 2, v[10:11]
	v_cmp_gt_u32_e64 s3, 0x16b, v0
	s_delay_alu instid0(VALU_DEP_4) | instskip(SKIP_2) | instid1(VALU_DEP_3)
	v_lshlrev_b64_e32 v[21:22], 2, v[1:2]
	v_mov_b32_e32 v1, v13
	s_wait_alu 0xf1ff
	v_cndmask_b32_e64 v11, 0xfffffe95, v14, s3
	v_add_co_u32 v13, s3, s10, v9
	s_wait_alu 0xf1ff
	v_add_co_ci_u32_e64 v14, s3, s11, v10, s3
	s_delay_alu instid0(VALU_DEP_3)
	v_add_nc_u32_e32 v35, v0, v11
	v_mad_co_u64_u32 v[9:10], null, s21, v34, v[1:2]
	v_add_co_u32 v10, s3, v13, v21
	s_wait_alu 0xf1ff
	v_add_co_ci_u32_e64 v11, s3, v14, v22, s3
	v_mov_b32_e32 v1, 0x441
	v_cmp_gt_u32_e64 s3, 0xf2, v0
	v_mad_co_u64_u32 v[21:22], null, s20, v35, 0
	v_mov_b32_e32 v13, v9
	s_wait_alu 0xf1ff
	s_delay_alu instid0(VALU_DEP_3) | instskip(SKIP_1) | instid1(VALU_DEP_2)
	v_cndmask_b32_e64 v14, 0xffffff0e, v1, s3
	v_cmp_lt_u32_e64 s3, 0x1e3, v0
	v_dual_mov_b32 v9, v22 :: v_dual_add_nc_u32 v36, v0, v14
	v_cndmask_b32_e64 v14, 0xffffff87, v23, s4
	s_wait_alu 0xf1ff
	s_delay_alu instid0(VALU_DEP_3) | instskip(NEXT) | instid1(VALU_DEP_3)
	v_cndmask_b32_e64 v1, 0, s22, s3
	v_mad_co_u64_u32 v[22:23], null, s21, v35, v[9:10]
	v_mad_co_u64_u32 v[23:24], null, s20, v36, 0
	v_add_nc_u32_e32 v37, v0, v14
	s_delay_alu instid0(VALU_DEP_4) | instskip(NEXT) | instid1(VALU_DEP_3)
	v_lshlrev_b64_e32 v[25:26], 2, v[1:2]
	v_mov_b32_e32 v9, v24
	s_delay_alu instid0(VALU_DEP_1) | instskip(NEXT) | instid1(VALU_DEP_1)
	v_mad_co_u64_u32 v[27:28], null, s21, v36, v[9:10]
	v_mov_b32_e32 v24, v27
	v_lshlrev_b64_e32 v[12:13], 2, v[12:13]
	s_delay_alu instid0(VALU_DEP_1) | instskip(SKIP_1) | instid1(VALU_DEP_2)
	v_add_co_u32 v14, s4, s10, v12
	s_wait_alu 0xf1ff
	v_add_co_ci_u32_e64 v29, s4, s11, v13, s4
	v_mad_co_u64_u32 v[12:13], null, s20, v37, 0
	v_cmp_lt_u32_e64 s4, 0x16a, v0
	v_add_co_u32 v25, s5, v14, v25
	s_wait_alu 0xf1ff
	v_add_co_ci_u32_e64 v26, s5, v29, v26, s5
	s_delay_alu instid0(VALU_DEP_3) | instskip(SKIP_2) | instid1(VALU_DEP_3)
	v_cndmask_b32_e64 v1, 0, s22, s4
	v_mov_b32_e32 v9, v13
	v_lshlrev_b64_e32 v[13:14], 2, v[21:22]
	v_lshlrev_b64_e32 v[28:29], 2, v[1:2]
	s_delay_alu instid0(VALU_DEP_3) | instskip(NEXT) | instid1(VALU_DEP_3)
	v_mad_co_u64_u32 v[21:22], null, s21, v37, v[9:10]
	v_add_co_u32 v1, s5, s10, v13
	s_wait_alu 0xf1ff
	s_delay_alu instid0(VALU_DEP_4) | instskip(SKIP_1) | instid1(VALU_DEP_3)
	v_add_co_ci_u32_e64 v9, s5, s11, v14, s5
	v_lshlrev_b64_e32 v[22:23], 2, v[23:24]
	v_add_co_u32 v27, s5, v1, v28
	s_wait_alu 0xf1ff
	s_delay_alu instid0(VALU_DEP_3) | instskip(SKIP_3) | instid1(VALU_DEP_1)
	v_add_co_ci_u32_e64 v28, s5, v9, v29, s5
	v_cmp_lt_u32_e64 s5, 0xf1, v0
	v_mov_b32_e32 v13, v21
	v_add_co_u32 v9, s6, s10, v22
	v_add_co_ci_u32_e64 v14, s6, s11, v23, s6
	s_wait_alu 0xf1ff
	v_cndmask_b32_e64 v1, 0, s22, s5
	v_cmp_lt_u32_e64 s6, 0x78, v0
	v_lshlrev_b64_e32 v[12:13], 2, v[12:13]
	v_cndmask_b32_e64 v29, 0, 0x14d0, s0
	s_delay_alu instid0(VALU_DEP_4) | instskip(SKIP_2) | instid1(VALU_DEP_4)
	v_lshlrev_b64_e32 v[21:22], 2, v[1:2]
	s_wait_alu 0xf1ff
	v_cndmask_b32_e64 v1, 0, s22, s6
	v_add_co_u32 v23, s7, s10, v12
	s_wait_alu 0xf1ff
	v_add_co_ci_u32_e64 v24, s7, s11, v13, s7
	s_delay_alu instid0(VALU_DEP_3) | instskip(SKIP_4) | instid1(VALU_DEP_4)
	v_lshlrev_b64_e32 v[12:13], 2, v[1:2]
	v_add_co_u32 v21, s7, v9, v21
	s_wait_alu 0xf1ff
	v_add_co_ci_u32_e64 v22, s7, v14, v22, s7
	v_mul_u32_u24_e32 v1, 0x21e, v0
	v_add_co_u32 v12, s7, v23, v12
	s_wait_alu 0xf1ff
	v_add_co_ci_u32_e64 v13, s7, v24, v13, s7
	s_clause 0xa
	global_load_b32 v9, v[3:4], off
	global_load_b32 v14, v[5:6], off
	;; [unrolled: 1-line block ×11, first 2 shown]
	v_lshrrev_b32_e32 v1, 16, v1
	v_lshlrev_b32_e32 v13, 2, v30
	v_cndmask_b32_e64 v28, 0, 0x14d0, vcc_lo
	v_lshlrev_b32_e32 v21, 2, v31
	v_lshlrev_b32_e32 v22, 2, v32
	v_mul_lo_u16 v1, 0x79, v1
	v_lshlrev_b32_e32 v23, 2, v33
	v_cndmask_b32_e64 v30, 0, 0x14d0, s1
	v_add3_u32 v13, 0, v13, v28
	v_cndmask_b32_e64 v28, 0, 0x14d0, s2
	v_sub_nc_u16 v10, v0, v1
	v_lshl_add_u32 v3, v0, 2, 0
	v_lshlrev_b32_e32 v24, 2, v34
	v_lshlrev_b32_e32 v25, 2, v35
	;; [unrolled: 1-line block ×3, first 2 shown]
	v_and_b32_e32 v8, 0xffff, v10
	v_lshlrev_b32_e32 v27, 2, v37
	v_add3_u32 v21, 0, v21, v29
	v_add3_u32 v22, 0, v22, v30
	v_cndmask_b32_e64 v29, 0, 0x14d0, s3
	v_lshl_add_u32 v1, v8, 2, 0
	v_cndmask_b32_e64 v30, 0, 0x14d0, s4
	v_cndmask_b32_e64 v31, 0, 0x14d0, s5
	v_add3_u32 v23, 0, v23, v28
	v_cndmask_b32_e64 v28, 0, 0x14d0, s6
	v_add_nc_u32_e32 v4, 0x200, v1
	v_add_nc_u32_e32 v5, 0x600, v1
	s_add_nc_u64 s[0:1], s[30:31], s[34:35]
	v_add_nc_u32_e32 v6, 0xa00, v1
	s_clause 0x1
	s_load_b128 s[12:15], s[30:31], 0x0
	s_load_b64 s[10:11], s[30:31], 0x10
	v_add3_u32 v24, 0, v24, v29
	v_add3_u32 v25, 0, v25, v30
	;; [unrolled: 1-line block ×4, first 2 shown]
	s_load_b64 s[0:1], s[0:1], 0x0
	s_mov_b32 s3, s25
	s_wait_loadcnt 0x9
	ds_store_2addr_b32 v3, v9, v14 offset1:121
	s_wait_loadcnt 0x8
	ds_store_b32 v3, v7 offset:968
	s_wait_loadcnt 0x7
	ds_store_b32 v13, v15
	s_wait_loadcnt 0x6
	ds_store_b32 v21, v16
	;; [unrolled: 2-line block ×8, first 2 shown]
	v_add_nc_u32_e32 v7, 0xe00, v1
	global_wb scope:SCOPE_SE
	s_wait_dscnt 0x0
	s_wait_kmcnt 0x0
	s_barrier_signal -1
	s_barrier_wait -1
	global_inv scope:SCOPE_SE
	ds_load_2addr_b32 v[11:12], v1 offset1:121
	ds_load_2addr_b32 v[13:14], v4 offset0:114 offset1:235
	ds_load_2addr_b32 v[15:16], v5 offset0:100 offset1:221
	;; [unrolled: 1-line block ×4, first 2 shown]
	ds_load_b32 v9, v1 offset:4840
	global_wb scope:SCOPE_SE
	s_wait_dscnt 0x0
	s_barrier_signal -1
	s_barrier_wait -1
	global_inv scope:SCOPE_SE
	s_mul_u64 s[4:5], s[12:13], s[28:29]
	s_mul_i32 s6, s10, 0x79
	s_mul_i32 s2, s23, s14
	s_wait_alu 0xfffe
	s_lshl_b64 s[4:5], s[4:5], 2
	s_mul_u64 s[0:1], s[0:1], s[26:27]
	s_wait_alu 0xfffe
	s_add_nc_u64 s[4:5], s[18:19], s[4:5]
	s_lshl_b64 s[2:3], s[2:3], 2
	s_lshl_b64 s[0:1], s[0:1], 2
	s_wait_alu 0xfffe
	s_add_nc_u64 s[2:3], s[4:5], s[2:3]
	s_wait_alu 0xfffe
	s_add_nc_u64 s[0:1], s[2:3], s[0:1]
	s_mov_b32 s2, exec_lo
	v_lshrrev_b32_e32 v24, 16, v15
	v_lshrrev_b32_e32 v21, 16, v12
	;; [unrolled: 1-line block ×5, first 2 shown]
	v_add_f16_e32 v32, v9, v12
	v_sub_f16_e32 v33, v12, v9
	v_add_f16_e32 v12, v12, v11
	v_add_f16_e32 v42, v30, v21
	v_sub_f16_e32 v43, v21, v30
	v_add_f16_e32 v21, v21, v31
	v_lshrrev_b32_e32 v23, 16, v14
	v_add_f16_e32 v12, v12, v13
	v_lshrrev_b32_e32 v25, 16, v16
	v_lshrrev_b32_e32 v26, 16, v17
	v_add_f16_e32 v21, v21, v22
	v_lshrrev_b32_e32 v27, 16, v18
	v_add_f16_e32 v12, v12, v14
	v_lshrrev_b32_e32 v29, 16, v20
	v_lshrrev_b32_e32 v28, 16, v19
	v_add_f16_e32 v21, v21, v23
	v_add_f16_e32 v34, v20, v13
	;; [unrolled: 1-line block ×3, first 2 shown]
	v_sub_f16_e32 v35, v13, v20
	v_mul_f16_e32 v45, 0xbb47, v33
	v_add_f16_e32 v21, v21, v24
	v_sub_f16_e32 v49, v22, v29
	v_add_f16_e32 v12, v12, v16
	v_pack_b32_f16 v13, v33, v32
	v_mul_f16_e32 v72, 0xbb47, v43
	v_add_f16_e32 v21, v21, v25
	v_sub_f16_e32 v37, v14, v19
	v_add_f16_e32 v12, v12, v17
	v_add_f16_e32 v38, v18, v15
	v_sub_f16_e32 v39, v15, v18
	v_add_f16_e32 v21, v21, v26
	v_add_f16_e32 v40, v17, v16
	;; [unrolled: 1-line block ×3, first 2 shown]
	v_sub_f16_e32 v41, v16, v17
	v_mul_f16_e32 v44, 0xb853, v33
	v_add_f16_e32 v21, v21, v27
	v_mul_f16_e32 v46, 0xbbeb, v33
	v_mul_f16_e32 v47, 0xba0c, v33
	v_add_f16_e32 v48, v29, v22
	v_mul_f16_e32 v50, 0xbb47, v35
	v_mul_f16_e32 v51, 0xba0c, v35
	;; [unrolled: 1-line block ×4, first 2 shown]
	v_sub_f16_e32 v55, v23, v28
	v_pack_b32_f16 v33, v35, v34
	v_mul_f16_e32 v35, 0xb853, v43
	v_fmamk_f16 v73, v42, 0x36a6, v45
	v_mul_f16_e32 v74, 0xbbeb, v43
	v_mul_f16_e32 v76, 0xba0c, v43
	;; [unrolled: 1-line block ×3, first 2 shown]
	v_pack_b32_f16 v15, v42, v43
	v_pk_mul_f16 v13, 0xbbadb482, v13
	v_fma_f16 v16, v32, 0x36a6, -v72
	v_fmac_f16_e32 v72, 0x36a6, v32
	v_add_f16_e32 v12, v12, v19
	v_add_f16_e32 v21, v21, v28
	v_add_f16_e32 v36, v19, v14
	v_add_f16_e32 v54, v28, v23
	v_mul_f16_e32 v57, 0x3482, v37
	v_sub_f16_e32 v61, v24, v27
	v_fmamk_f16 v71, v42, 0x3abb, v44
	v_fma_f16 v44, v42, 0x3abb, -v44
	v_fma_f16 v45, v42, 0x36a6, -v45
	v_fmamk_f16 v75, v42, 0xb08e, v46
	v_fma_f16 v46, v42, 0xb08e, -v46
	v_fmamk_f16 v77, v42, 0xb93d, v47
	v_fma_f16 v47, v42, 0xb93d, -v47
	v_mul_f16_e32 v78, 0xbb47, v49
	v_fmamk_f16 v79, v48, 0x36a6, v50
	v_fma_f16 v50, v48, 0x36a6, -v50
	v_fmamk_f16 v81, v48, 0xb93d, v51
	v_fma_f16 v51, v48, 0xb93d, -v51
	v_mul_f16_e32 v82, 0x3482, v49
	v_fmamk_f16 v83, v48, 0xbbad, v52
	v_fma_f16 v52, v48, 0xbbad, -v52
	v_mul_f16_e32 v84, 0x3beb, v49
	;; [unrolled: 3-line block ×3, first 2 shown]
	v_pack_b32_f16 v42, v48, v49
	v_fma_f16 v43, v32, 0x3abb, -v35
	v_fmac_f16_e32 v35, 0x3abb, v32
	v_fma_f16 v48, v32, 0xb08e, -v74
	v_fmac_f16_e32 v74, 0xb08e, v32
	;; [unrolled: 2-line block ×3, first 2 shown]
	v_pk_fma_f16 v18, 0xb482bbad, v15, v13 neg_lo:[0,1,0] neg_hi:[0,1,0]
	v_pk_fma_f16 v49, 0xb482bbad, v15, v13
	v_pk_fma_f16 v13, 0xb482bbad, v15, v13 neg_lo:[0,0,1] neg_hi:[0,0,1]
	v_add_f16_e32 v16, v16, v11
	v_add_f16_e32 v72, v72, v11
	v_fma_f16 v19, v34, 0xb93d, -v80
	v_fmac_f16_e32 v80, 0xb93d, v34
	v_add_f16_e32 v12, v12, v20
	v_add_f16_e32 v73, v73, v31
	;; [unrolled: 1-line block ×3, first 2 shown]
	v_mul_f16_e32 v56, 0xbbeb, v37
	v_add_f16_e32 v60, v27, v24
	v_mul_f16_e32 v63, 0x3beb, v39
	v_add_f16_e32 v66, v26, v25
	v_sub_f16_e32 v67, v25, v26
	v_mul_f16_e32 v86, 0xbbeb, v55
	v_fmamk_f16 v14, v54, 0xbbad, v57
	v_mul_f16_e32 v89, 0x3b47, v55
	v_mul_f16_e32 v32, 0xb853, v55
	v_add_f16_e32 v43, v43, v11
	v_add_f16_e32 v35, v35, v11
	;; [unrolled: 1-line block ×6, first 2 shown]
	v_pk_add_f16 v18, v18, v11 op_sel:[0,1] op_sel_hi:[1,0]
	v_pk_add_f16 v49, v49, v11 op_sel:[0,1] op_sel_hi:[1,0]
	;; [unrolled: 1-line block ×3, first 2 shown]
	v_fma_f16 v13, v34, 0x36a6, -v78
	v_fmac_f16_e32 v78, 0x36a6, v34
	v_add_f16_e32 v71, v71, v31
	v_add_f16_e32 v44, v44, v31
	;; [unrolled: 1-line block ×7, first 2 shown]
	v_mul_f16_e32 v47, 0x3beb, v61
	v_add_f16_e32 v73, v81, v73
	v_add_f16_e32 v16, v19, v16
	v_fma_f16 v26, v36, 0xbbad, -v88
	v_fmac_f16_e32 v88, 0xbbad, v36
	v_add_f16_e32 v72, v80, v72
	v_add_f16_e32 v9, v12, v9
	v_add_f16_e32 v21, v21, v30
	v_mul_f16_e32 v59, 0xb853, v37
	v_mul_f16_e32 v62, 0xba0c, v39
	v_fmamk_f16 v87, v54, 0xb08e, v56
	v_fma_f16 v57, v54, 0xbbad, -v57
	v_fma_f16 v20, v34, 0xbbad, -v82
	v_fmac_f16_e32 v82, 0xbbad, v34
	v_fma_f16 v90, v34, 0xb08e, -v84
	v_fmac_f16_e32 v84, 0xb08e, v34
	v_mul_f16_e32 v34, 0xba0c, v61
	v_fmamk_f16 v24, v60, 0xb08e, v63
	v_add_f16_e32 v71, v79, v71
	v_add_f16_e32 v45, v51, v45
	;; [unrolled: 1-line block ×4, first 2 shown]
	v_pk_mul_f16 v33, 0x3abb3853, v33
	v_fma_f16 v19, v36, 0xb08e, -v86
	v_fmac_f16_e32 v86, 0xb08e, v36
	v_fma_f16 v80, v36, 0x36a6, -v89
	v_fmac_f16_e32 v89, 0x36a6, v36
	;; [unrolled: 2-line block ×4, first 2 shown]
	v_and_b32_e32 v9, 0xffff, v9
	v_lshlrev_b32_e32 v21, 16, v21
	v_add_f16_e32 v16, v26, v16
	v_add_f16_e32 v14, v14, v73
	;; [unrolled: 1-line block ×3, first 2 shown]
	v_pack_b32_f16 v36, v37, v36
	v_mul_f16_e32 v58, 0x3b47, v37
	v_mul_f16_e32 v65, 0xb482, v39
	v_fmamk_f16 v15, v54, 0x3abb, v59
	v_fma_f16 v59, v54, 0x3abb, -v59
	v_fmamk_f16 v23, v60, 0xb93d, v62
	v_mul_f16_e32 v81, 0xb482, v61
	v_add_f16_e32 v20, v20, v48
	v_fma_f16 v48, v38, 0xb93d, -v34
	v_fmac_f16_e32 v34, 0xb93d, v38
	v_add_f16_e32 v17, v90, v17
	v_add_f16_e32 v76, v84, v76
	v_pk_fma_f16 v84, 0x38533abb, v42, v33 neg_lo:[0,1,0] neg_hi:[0,1,0]
	v_or_b32_e32 v21, v21, v9
	v_add_f16_e32 v9, v53, v31
	v_add_f16_e32 v13, v19, v13
	v_add_f16_e32 v19, v87, v71
	v_add_f16_e32 v35, v86, v35
	v_add_f16_e32 v37, v57, v45
	v_pack_b32_f16 v45, v54, v55
	v_pk_mul_f16 v36, 0xb93dba0c, v36
	v_add_f16_e32 v14, v24, v14
	v_add_f16_e32 v24, v47, v26
	v_pack_b32_f16 v26, v39, v38
	v_fma_f16 v56, v54, 0xb08e, -v56
	v_fma_f16 v63, v60, 0xb08e, -v63
	v_add_f16_e32 v44, v50, v44
	v_fmamk_f16 v51, v60, 0xbbad, v65
	v_fma_f16 v65, v60, 0xbbad, -v65
	v_add_f16_e32 v77, v85, v77
	v_mul_f16_e32 v85, 0x3853, v67
	v_fma_f16 v29, v38, 0xbbad, -v81
	v_pk_fma_f16 v31, 0x38533abb, v42, v33
	v_pk_add_f16 v18, v84, v18
	v_add_f16_e32 v17, v27, v17
	v_pk_fma_f16 v27, 0xba0cb93d, v45, v36 neg_lo:[0,1,0] neg_hi:[0,1,0]
	v_add_f16_e32 v9, v59, v9
	v_add_f16_e32 v19, v23, v19
	;; [unrolled: 1-line block ×3, first 2 shown]
	v_pack_b32_f16 v34, v60, v61
	v_pk_mul_f16 v26, 0x36a63b47, v26
	v_mul_f16_e32 v68, 0xb482, v41
	v_fma_f16 v62, v60, 0xb93d, -v62
	v_add_f16_e32 v75, v83, v75
	v_mul_f16_e32 v83, 0xb482, v67
	v_fmac_f16_e32 v81, 0xbbad, v38
	v_fma_f16 v30, v40, 0x3abb, -v85
	v_mul_f16_e32 v53, 0x3b47, v67
	v_pk_add_f16 v31, v31, v49
	v_add_f16_e32 v44, v56, v44
	v_pk_fma_f16 v55, 0xba0cb93d, v45, v36
	v_add_f16_e32 v32, v32, v76
	v_pk_add_f16 v18, v27, v18
	v_add_f16_e32 v16, v28, v16
	v_add_f16_e32 v28, v63, v37
	v_add_f16_e32 v17, v29, v17
	v_pk_fma_f16 v29, 0x3b4736a6, v34, v26 neg_lo:[0,1,0] neg_hi:[0,1,0]
	v_pk_fma_f16 v37, 0x3b4736a6, v34, v26
	v_pk_fma_f16 v26, 0x3b4736a6, v34, v26 neg_lo:[0,0,1] neg_hi:[0,0,1]
	v_add_f16_e32 v34, v65, v9
	v_pack_b32_f16 v9, v41, v40
	v_add_f16_e32 v46, v52, v46
	v_fmamk_f16 v52, v66, 0xbbad, v68
	v_fma_f16 v68, v66, 0xbbad, -v68
	v_fma_f16 v12, v40, 0xbbad, -v83
	v_fmac_f16_e32 v83, 0xbbad, v40
	v_fma_f16 v49, v40, 0x36a6, -v53
	v_fmac_f16_e32 v53, 0x36a6, v40
	v_pk_add_f16 v27, v55, v31
	v_add_f16_e32 v13, v48, v13
	v_add_f16_e32 v31, v62, v44
	;; [unrolled: 1-line block ×3, first 2 shown]
	v_pk_add_f16 v18, v29, v18
	v_add_f16_e32 v16, v30, v16
	v_pack_b32_f16 v29, v66, v67
	v_pk_mul_f16 v30, 0xb08ebbeb, v9
	v_mul_lo_u16 v9, 0xbb, v10
	v_mul_f16_e32 v79, 0xb853, v61
	v_add_f16_e32 v74, v82, v74
	v_pk_fma_f16 v33, 0x38533abb, v42, v33 neg_lo:[0,0,1] neg_hi:[0,0,1]
	v_mul_f16_e32 v64, 0xb853, v39
	v_fmamk_f16 v22, v54, 0x36a6, v58
	v_add_f16_e32 v12, v12, v13
	v_add_f16_e32 v13, v52, v19
	;; [unrolled: 1-line block ×5, first 2 shown]
	v_pk_fma_f16 v32, 0xbbebb08e, v29, v30 neg_lo:[0,1,0] neg_hi:[0,1,0]
	v_lshrrev_b16 v9, 11, v9
	v_fma_f16 v58, v54, 0x36a6, -v58
	v_mul_f16_e32 v43, 0xba0c, v67
	v_fma_f16 v82, v38, 0x3abb, -v79
	v_fmac_f16_e32 v79, 0x3abb, v38
	v_pk_add_f16 v11, v33, v11
	v_add_f16_e32 v54, v89, v74
	v_pk_fma_f16 v36, 0xba0cb93d, v45, v36 neg_lo:[0,0,1] neg_hi:[0,0,1]
	v_mul_f16_e32 v70, 0xba0c, v41
	v_fmamk_f16 v50, v60, 0x3abb, v64
	v_mul_f16_e32 v84, 0x3b47, v41
	v_add_f16_e32 v20, v80, v20
	v_add_f16_e32 v22, v22, v75
	;; [unrolled: 1-line block ×3, first 2 shown]
	v_pk_add_f16 v18, v32, v18
	v_mul_lo_u16 v32, v9, 11
	v_mul_f16_e32 v69, 0x3853, v41
	v_fma_f16 v90, v40, 0xb93d, -v43
	v_fmac_f16_e32 v43, 0xb93d, v40
	v_pk_add_f16 v11, v36, v11
	v_add_f16_e32 v35, v79, v54
	v_fma_f16 v64, v60, 0x3abb, -v64
	v_add_f16_e32 v46, v58, v46
	v_fmamk_f16 v78, v66, 0xb93d, v70
	v_fmamk_f16 v42, v66, 0x36a6, v84
	v_add_f16_e32 v20, v82, v20
	v_add_f16_e32 v22, v50, v22
	;; [unrolled: 1-line block ×3, first 2 shown]
	v_sub_nc_u16 v10, v10, v32
	v_fmamk_f16 v25, v66, 0x3abb, v69
	v_pk_add_f16 v27, v37, v27
	v_pk_add_f16 v11, v26, v11
	v_add_f16_e32 v26, v43, v35
	v_pk_fma_f16 v35, 0xbbebb08e, v29, v30
	v_pk_fma_f16 v29, 0xbbebb08e, v29, v30 neg_lo:[0,0,1] neg_hi:[0,0,1]
	v_fma_f16 v69, v66, 0x3abb, -v69
	v_fma_f16 v70, v66, 0xb93d, -v70
	;; [unrolled: 1-line block ×3, first 2 shown]
	v_add_f16_e32 v36, v64, v46
	v_fmac_f16_e32 v85, 0x3abb, v40
	v_add_f16_e32 v20, v90, v20
	v_add_f16_e32 v22, v78, v22
	;; [unrolled: 1-line block ×4, first 2 shown]
	v_and_b32_e32 v10, 0xff, v10
	v_add_f16_e32 v14, v25, v14
	v_pk_add_f16 v27, v35, v27
	v_pk_add_f16 v11, v29, v11
	v_add_f16_e32 v25, v69, v28
	v_add_f16_e32 v28, v70, v36
	;; [unrolled: 1-line block ×3, first 2 shown]
	v_mad_u32_u24 v33, v8, 40, v1
	v_add_f16_e32 v24, v85, v24
	v_pack_b32_f16 v12, v12, v13
	v_pack_b32_f16 v13, v17, v15
	;; [unrolled: 1-line block ×3, first 2 shown]
	v_mul_u32_u24_e32 v22, 10, v10
	v_pack_b32_f16 v14, v16, v14
	v_alignbit_b32 v11, v11, v27, 16
	v_alignbit_b32 v16, v27, v18, 16
	v_pack_b32_f16 v17, v26, v28
	v_pack_b32_f16 v18, v31, v30
	;; [unrolled: 1-line block ×4, first 2 shown]
	ds_store_b32 v33, v21
	ds_store_2addr_b32 v33, v12, v14 offset0:1 offset1:2
	ds_store_2addr_b32 v33, v15, v13 offset0:3 offset1:4
	;; [unrolled: 1-line block ×5, first 2 shown]
	v_lshlrev_b32_e32 v19, 2, v22
	global_wb scope:SCOPE_SE
	s_wait_dscnt 0x0
	s_barrier_signal -1
	s_barrier_wait -1
	global_inv scope:SCOPE_SE
	s_clause 0x2
	global_load_b128 v[11:14], v19, s[8:9]
	global_load_b128 v[15:18], v19, s[8:9] offset:16
	global_load_b64 v[19:20], v19, s[8:9] offset:32
	ds_load_2addr_b32 v[21:22], v6 offset0:86 offset1:207
	ds_load_2addr_b32 v[23:24], v7 offset0:72 offset1:193
	ds_load_b32 v31, v1 offset:4840
	ds_load_2addr_b32 v[25:26], v1 offset1:121
	ds_load_2addr_b32 v[27:28], v4 offset0:114 offset1:235
	ds_load_2addr_b32 v[29:30], v5 offset0:100 offset1:221
	v_and_b32_e32 v9, 0xffff, v9
	v_lshlrev_b32_e32 v10, 2, v10
	global_wb scope:SCOPE_SE
	s_wait_loadcnt_dscnt 0x0
	s_barrier_signal -1
	s_barrier_wait -1
	v_mul_u32_u24_e32 v9, 0x1e4, v9
	global_inv scope:SCOPE_SE
	v_mul_u32_u24_e32 v8, 10, v8
	v_add3_u32 v9, 0, v9, v10
	v_lshrrev_b32_e32 v32, 16, v21
	v_lshrrev_b32_e32 v33, 16, v22
	;; [unrolled: 1-line block ×21, first 2 shown]
	v_mul_f16_e32 v53, v43, v37
	v_mul_f16_e32 v43, v43, v26
	;; [unrolled: 1-line block ×20, first 2 shown]
	v_fma_f16 v26, v11, v26, -v53
	v_fmac_f16_e32 v43, v11, v37
	v_fma_f16 v11, v12, v27, -v54
	v_fmac_f16_e32 v44, v12, v38
	;; [unrolled: 2-line block ×8, first 2 shown]
	v_fma_f16 v18, v24, v19, -v61
	v_fma_f16 v21, v31, v20, -v62
	v_fmac_f16_e32 v52, v36, v20
	v_fmac_f16_e32 v51, v35, v19
	v_add_f16_e32 v19, v26, v25
	v_add_f16_e32 v20, v43, v42
	;; [unrolled: 1-line block ×3, first 2 shown]
	v_sub_f16_e32 v29, v11, v18
	v_add_f16_e32 v31, v12, v17
	v_add_f16_e32 v11, v19, v11
	;; [unrolled: 1-line block ×3, first 2 shown]
	v_sub_f16_e32 v33, v12, v17
	v_add_f16_e32 v22, v26, v21
	v_sub_f16_e32 v24, v26, v21
	v_add_f16_e32 v11, v11, v12
	v_add_f16_e32 v12, v19, v45
	v_sub_f16_e32 v26, v43, v52
	v_add_f16_e32 v23, v43, v52
	v_sub_f16_e32 v30, v44, v51
	v_add_f16_e32 v11, v11, v13
	v_add_f16_e32 v12, v12, v46
	v_mul_f16_e32 v20, 0xb853, v26
	v_mul_f16_e32 v37, 0xb853, v24
	;; [unrolled: 1-line block ×3, first 2 shown]
	v_add_f16_e32 v11, v11, v14
	v_add_f16_e32 v12, v12, v47
	;; [unrolled: 1-line block ×4, first 2 shown]
	v_sub_f16_e32 v34, v45, v50
	v_add_f16_e32 v11, v11, v15
	v_add_f16_e32 v12, v12, v48
	v_mul_f16_e32 v39, 0xbb47, v24
	v_mul_f16_e32 v40, 0xbbeb, v26
	;; [unrolled: 1-line block ×10, first 2 shown]
	v_fma_f16 v19, v22, 0x3abb, -v20
	v_fmamk_f16 v45, v23, 0x3abb, v37
	v_fma_f16 v37, v23, 0x3abb, -v37
	v_fma_f16 v69, v22, 0x36a6, -v38
	v_add_f16_e32 v12, v12, v49
	v_add_f16_e32 v11, v11, v16
	;; [unrolled: 1-line block ×3, first 2 shown]
	v_sub_f16_e32 v36, v46, v49
	v_mul_f16_e32 v56, 0xba0c, v29
	v_mul_f16_e32 v57, 0x3482, v30
	;; [unrolled: 1-line block ×17, first 2 shown]
	v_fmac_f16_e32 v20, 0x3abb, v22
	v_fmamk_f16 v70, v23, 0x36a6, v39
	v_fmac_f16_e32 v38, 0x36a6, v22
	v_fma_f16 v39, v23, 0x36a6, -v39
	v_fma_f16 v71, v22, 0xb08e, -v40
	v_fmamk_f16 v72, v23, 0xb08e, v41
	v_fmac_f16_e32 v40, 0xb08e, v22
	v_fma_f16 v41, v23, 0xb08e, -v41
	v_fma_f16 v73, v22, 0xb93d, -v43
	;; [unrolled: 4-line block ×4, first 2 shown]
	v_fmamk_f16 v24, v28, 0x36a6, v54
	v_fma_f16 v54, v28, 0x36a6, -v54
	v_fma_f16 v77, v27, 0xb93d, -v55
	v_add_f16_e32 v19, v19, v25
	v_add_f16_e32 v69, v69, v25
	v_sub_f16_e32 v13, v13, v16
	v_add_f16_e32 v37, v37, v42
	v_add_f16_e32 v12, v12, v50
	;; [unrolled: 1-line block ×3, first 2 shown]
	v_fmac_f16_e32 v53, 0x36a6, v27
	v_fmamk_f16 v78, v28, 0xb93d, v56
	v_fmac_f16_e32 v55, 0xb93d, v27
	v_fma_f16 v56, v28, 0xb93d, -v56
	v_fma_f16 v79, v27, 0xbbad, -v57
	v_fmamk_f16 v80, v28, 0xbbad, v58
	v_fmac_f16_e32 v57, 0xbbad, v27
	v_fma_f16 v58, v28, 0xbbad, -v58
	v_fma_f16 v81, v27, 0xb08e, -v59
	v_fmamk_f16 v82, v28, 0xb08e, v60
	v_fmac_f16_e32 v59, 0xb08e, v27
	v_fma_f16 v60, v28, 0xb08e, -v60
	v_fma_f16 v83, v27, 0x3abb, -v30
	v_fmamk_f16 v84, v28, 0x3abb, v29
	v_fmac_f16_e32 v30, 0x3abb, v27
	v_fma_f16 v27, v28, 0x3abb, -v29
	v_fma_f16 v28, v31, 0xb08e, -v61
	v_fmamk_f16 v29, v32, 0xb08e, v62
	v_fmac_f16_e32 v61, 0xb08e, v31
	v_fma_f16 v62, v32, 0xb08e, -v62
	v_fma_f16 v85, v31, 0xbbad, -v63
	v_fmamk_f16 v86, v32, 0xbbad, v64
	v_fmac_f16_e32 v63, 0xbbad, v31
	v_fma_f16 v64, v32, 0xbbad, -v64
	v_fma_f16 v87, v31, 0x36a6, -v65
	v_fmamk_f16 v88, v32, 0x36a6, v66
	v_fmac_f16_e32 v65, 0x36a6, v31
	v_fma_f16 v66, v32, 0x36a6, -v66
	v_fma_f16 v89, v31, 0x3abb, -v67
	v_add_f16_e32 v20, v20, v25
	v_add_f16_e32 v38, v38, v25
	;; [unrolled: 1-line block ×8, first 2 shown]
	v_fmamk_f16 v26, v32, 0x3abb, v68
	v_fmac_f16_e32 v67, 0x3abb, v31
	v_fma_f16 v68, v32, 0x3abb, -v68
	v_fma_f16 v90, v31, 0xb93d, -v34
	v_fmac_f16_e32 v34, 0xb93d, v31
	v_fmamk_f16 v31, v32, 0xb93d, v33
	v_fma_f16 v32, v32, 0xb93d, -v33
	v_add_f16_e32 v33, v46, v49
	v_add_f16_e32 v45, v45, v42
	;; [unrolled: 1-line block ×10, first 2 shown]
	v_mul_f16_e32 v42, 0xba0c, v13
	v_add_f16_e32 v19, v23, v19
	v_mul_f16_e32 v23, 0x3beb, v36
	v_add_f16_e32 v37, v54, v37
	v_add_f16_e32 v69, v77, v69
	;; [unrolled: 1-line block ×4, first 2 shown]
	v_fmamk_f16 v77, v33, 0xb93d, v42
	v_fma_f16 v42, v33, 0xb93d, -v42
	v_add_f16_e32 v70, v78, v70
	v_fma_f16 v78, v35, 0xb08e, -v23
	v_add_f16_e32 v38, v55, v38
	v_add_f16_e32 v25, v30, v25
	;; [unrolled: 1-line block ×9, first 2 shown]
	v_mul_f16_e32 v45, 0x3beb, v13
	v_add_f16_e32 v39, v56, v39
	v_add_f16_e32 v56, v79, v71
	;; [unrolled: 1-line block ×5, first 2 shown]
	v_lshlrev_b32_e32 v12, 16, v12
	v_and_b32_e32 v11, 0xffff, v11
	v_add_f16_e32 v25, v42, v27
	v_add_f16_e32 v27, v78, v28
	v_fmac_f16_e32 v23, 0xb08e, v35
	v_mul_f16_e32 v28, 0xb853, v13
	v_add_f16_e32 v20, v53, v20
	v_mul_f16_e32 v53, 0xb853, v36
	v_add_f16_e32 v40, v57, v40
	v_add_f16_e32 v57, v81, v73
	;; [unrolled: 1-line block ×4, first 2 shown]
	v_or_b32_e32 v11, v12, v11
	v_fma_f16 v12, v33, 0xb08e, -v45
	v_add_f16_e32 v23, v23, v30
	v_fmamk_f16 v30, v33, 0x3abb, v28
	v_mul_f16_e32 v34, 0xb482, v36
	v_mul_f16_e32 v46, 0xba0c, v36
	v_add_f16_e32 v41, v58, v41
	v_add_f16_e32 v43, v59, v43
	;; [unrolled: 1-line block ×8, first 2 shown]
	v_fma_f16 v32, v35, 0x3abb, -v53
	v_add_f16_e32 v12, v12, v37
	v_fmac_f16_e32 v53, 0x3abb, v35
	v_add_f16_e32 v16, v30, v16
	v_mul_f16_e32 v30, 0xb482, v13
	v_fma_f16 v37, v35, 0xbbad, -v34
	v_mul_f16_e32 v36, 0x3b47, v36
	v_add_f16_e32 v58, v82, v74
	v_add_f16_e32 v40, v66, v41
	;; [unrolled: 1-line block ×7, first 2 shown]
	v_fmamk_f16 v39, v33, 0xbbad, v30
	v_add_f16_e32 v17, v37, v17
	v_fma_f16 v30, v33, 0xbbad, -v30
	v_fma_f16 v37, v35, 0x36a6, -v36
	v_add_f16_e32 v60, v84, v76
	v_add_f16_e32 v26, v26, v58
	v_mul_f16_e32 v13, 0x3b47, v13
	v_add_f16_e32 v18, v30, v18
	v_add_f16_e32 v30, v37, v43
	v_sub_f16_e32 v37, v47, v48
	v_fma_f16 v54, v35, 0xb93d, -v46
	v_fmac_f16_e32 v46, 0xb93d, v35
	v_add_f16_e32 v31, v31, v60
	v_fma_f16 v28, v33, 0x3abb, -v28
	v_fmac_f16_e32 v34, 0xbbad, v35
	v_add_f16_e32 v26, v39, v26
	v_fmamk_f16 v39, v33, 0x36a6, v13
	v_fmac_f16_e32 v36, 0x36a6, v35
	v_sub_f16_e32 v35, v14, v15
	v_add_f16_e32 v14, v14, v15
	v_mul_f16_e32 v15, 0xb482, v37
	v_fmamk_f16 v55, v33, 0xb08e, v45
	v_add_f16_e32 v24, v29, v24
	v_add_f16_e32 v20, v61, v20
	;; [unrolled: 1-line block ×4, first 2 shown]
	v_fma_f16 v13, v33, 0x36a6, -v13
	v_add_f16_e32 v33, v47, v48
	v_mul_f16_e32 v40, 0xb482, v35
	v_add_f16_e32 v31, v39, v31
	v_fma_f16 v39, v14, 0xbbad, -v15
	v_add_f16_e32 v24, v77, v24
	v_add_f16_e32 v20, v46, v20
	;; [unrolled: 1-line block ×4, first 2 shown]
	v_fmamk_f16 v22, v33, 0xbbad, v40
	v_mul_f16_e32 v36, 0x3853, v37
	v_add_f16_e32 v19, v39, v19
	v_fmac_f16_e32 v15, 0xbbad, v14
	v_fma_f16 v39, v33, 0xbbad, -v40
	v_add_f16_e32 v29, v86, v70
	v_add_f16_e32 v22, v22, v24
	v_fma_f16 v24, v14, 0x3abb, -v36
	v_mul_f16_e32 v40, 0x3853, v35
	v_add_f16_e32 v15, v15, v20
	v_add_f16_e32 v20, v39, v25
	v_mul_f16_e32 v25, 0xba0c, v37
	v_add_f16_e32 v29, v55, v29
	v_add_f16_e32 v34, v34, v41
	;; [unrolled: 1-line block ×3, first 2 shown]
	v_fmamk_f16 v27, v33, 0x3abb, v40
	v_fmac_f16_e32 v36, 0x3abb, v14
	v_fma_f16 v39, v33, 0x3abb, -v40
	v_fma_f16 v40, v14, 0xb93d, -v25
	v_mul_f16_e32 v41, 0xba0c, v35
	v_add_f16_e32 v27, v27, v29
	v_add_f16_e32 v23, v36, v23
	v_mul_f16_e32 v36, 0x3b47, v37
	v_add_f16_e32 v29, v40, v32
	v_fmamk_f16 v32, v33, 0xb93d, v41
	v_fmac_f16_e32 v25, 0xb93d, v14
	v_mul_f16_e32 v40, 0x3b47, v35
	v_mul_f16_e32 v37, 0xbbeb, v37
	;; [unrolled: 1-line block ×3, first 2 shown]
	v_add_f16_e32 v16, v32, v16
	v_fma_f16 v32, v14, 0x36a6, -v36
	v_add_f16_e32 v25, v25, v38
	v_fmamk_f16 v38, v33, 0x36a6, v40
	v_fmac_f16_e32 v36, 0x36a6, v14
	v_add_f16_e32 v12, v39, v12
	v_add_f16_e32 v17, v32, v17
	v_fma_f16 v32, v33, 0x36a6, -v40
	v_add_f16_e32 v26, v38, v26
	v_fma_f16 v38, v14, 0xb08e, -v37
	v_fmac_f16_e32 v37, 0xb08e, v14
	v_fma_f16 v14, v33, 0xb08e, -v35
	v_add_f16_e32 v18, v32, v18
	v_fmamk_f16 v32, v33, 0xb08e, v35
	v_fma_f16 v39, v33, 0xb93d, -v41
	v_add_f16_e32 v30, v38, v30
	v_pack_b32_f16 v10, v19, v22
	v_add_f16_e32 v34, v36, v34
	v_add_f16_e32 v31, v32, v31
	;; [unrolled: 1-line block ×4, first 2 shown]
	v_pack_b32_f16 v14, v24, v27
	v_pack_b32_f16 v16, v29, v16
	v_add_f16_e32 v28, v39, v28
	ds_store_2addr_b32 v9, v11, v10 offset1:11
	ds_store_2addr_b32 v9, v14, v16 offset0:22 offset1:33
	v_pack_b32_f16 v10, v17, v26
	v_pack_b32_f16 v11, v30, v31
	;; [unrolled: 1-line block ×7, first 2 shown]
	ds_store_2addr_b32 v9, v10, v11 offset0:44 offset1:55
	ds_store_2addr_b32 v9, v13, v14 offset0:66 offset1:77
	;; [unrolled: 1-line block ×3, first 2 shown]
	ds_store_b32 v9, v15 offset:440
	v_lshlrev_b32_e32 v16, 2, v8
	global_wb scope:SCOPE_SE
	s_wait_dscnt 0x0
	s_barrier_signal -1
	s_barrier_wait -1
	global_inv scope:SCOPE_SE
	s_clause 0x2
	global_load_b128 v[8:11], v16, s[8:9] offset:440
	global_load_b128 v[12:15], v16, s[8:9] offset:456
	global_load_b64 v[16:17], v16, s[8:9] offset:472
	ds_load_2addr_b32 v[18:19], v6 offset0:86 offset1:207
	ds_load_2addr_b32 v[20:21], v7 offset0:72 offset1:193
	ds_load_b32 v28, v1 offset:4840
	ds_load_2addr_b32 v[22:23], v1 offset1:121
	ds_load_2addr_b32 v[24:25], v4 offset0:114 offset1:235
	ds_load_2addr_b32 v[26:27], v5 offset0:100 offset1:221
	global_wb scope:SCOPE_SE
	s_wait_loadcnt_dscnt 0x0
	s_barrier_signal -1
	s_barrier_wait -1
	global_inv scope:SCOPE_SE
	v_lshrrev_b32_e32 v29, 16, v18
	v_lshrrev_b32_e32 v30, 16, v19
	;; [unrolled: 1-line block ×21, first 2 shown]
	v_mul_f16_e32 v50, v40, v34
	v_mul_f16_e32 v40, v40, v23
	;; [unrolled: 1-line block ×20, first 2 shown]
	v_fma_f16 v23, v8, v23, -v50
	v_fmac_f16_e32 v40, v8, v34
	v_fma_f16 v8, v9, v24, -v51
	v_fmac_f16_e32 v41, v9, v35
	v_fma_f16 v9, v10, v25, -v52
	v_fmac_f16_e32 v42, v10, v36
	v_fma_f16 v10, v11, v26, -v53
	v_fmac_f16_e32 v43, v11, v37
	v_fma_f16 v11, v12, v27, -v54
	v_fmac_f16_e32 v44, v12, v38
	v_fma_f16 v12, v18, v13, -v55
	v_fmac_f16_e32 v45, v29, v13
	v_fma_f16 v13, v19, v14, -v56
	v_fmac_f16_e32 v46, v30, v14
	v_fma_f16 v14, v20, v15, -v57
	v_fmac_f16_e32 v47, v31, v15
	v_fma_f16 v15, v21, v16, -v58
	v_fma_f16 v18, v28, v17, -v59
	v_fmac_f16_e32 v49, v33, v17
	v_fmac_f16_e32 v48, v32, v16
	v_add_f16_e32 v16, v23, v22
	v_add_f16_e32 v17, v40, v39
	;; [unrolled: 1-line block ×3, first 2 shown]
	v_sub_f16_e32 v26, v8, v15
	v_add_f16_e32 v28, v9, v14
	v_add_f16_e32 v8, v16, v8
	;; [unrolled: 1-line block ×3, first 2 shown]
	v_sub_f16_e32 v30, v9, v14
	v_sub_f16_e32 v21, v23, v18
	v_add_f16_e32 v19, v23, v18
	v_add_f16_e32 v8, v8, v9
	;; [unrolled: 1-line block ×4, first 2 shown]
	v_sub_f16_e32 v23, v40, v49
	v_mul_f16_e32 v36, 0xb853, v21
	v_add_f16_e32 v8, v8, v10
	v_add_f16_e32 v9, v9, v43
	;; [unrolled: 1-line block ×3, first 2 shown]
	v_sub_f16_e32 v27, v41, v48
	v_add_f16_e32 v29, v42, v47
	v_add_f16_e32 v8, v8, v11
	;; [unrolled: 1-line block ×3, first 2 shown]
	v_sub_f16_e32 v31, v42, v47
	v_mul_f16_e32 v17, 0xb853, v23
	v_mul_f16_e32 v37, 0xbb47, v23
	;; [unrolled: 1-line block ×10, first 2 shown]
	v_fmamk_f16 v42, v20, 0x3abb, v36
	v_fma_f16 v36, v20, 0x3abb, -v36
	v_add_f16_e32 v8, v8, v12
	v_add_f16_e32 v9, v9, v45
	v_sub_f16_e32 v34, v10, v13
	v_mul_f16_e32 v52, 0xbb47, v27
	v_mul_f16_e32 v54, 0xba0c, v27
	;; [unrolled: 1-line block ×19, first 2 shown]
	v_fma_f16 v16, v19, 0x3abb, -v17
	v_fmac_f16_e32 v17, 0x3abb, v19
	v_fma_f16 v69, v19, 0x36a6, -v37
	v_fmac_f16_e32 v37, 0x36a6, v19
	;; [unrolled: 2-line block ×4, first 2 shown]
	v_fma_f16 v75, v19, 0xbbad, -v23
	v_fmamk_f16 v76, v20, 0xbbad, v21
	v_fmac_f16_e32 v23, 0xbbad, v19
	v_fma_f16 v19, v20, 0xbbad, -v21
	v_fmamk_f16 v21, v25, 0x36a6, v53
	v_fma_f16 v53, v25, 0x36a6, -v53
	v_add_f16_e32 v42, v42, v39
	v_add_f16_e32 v36, v36, v39
	;; [unrolled: 1-line block ×5, first 2 shown]
	v_fmamk_f16 v70, v20, 0x36a6, v38
	v_fma_f16 v38, v20, 0x36a6, -v38
	v_fmamk_f16 v72, v20, 0xb08e, v41
	v_fma_f16 v41, v20, 0xb08e, -v41
	;; [unrolled: 2-line block ×3, first 2 shown]
	v_fma_f16 v20, v24, 0x36a6, -v52
	v_fmac_f16_e32 v52, 0x36a6, v24
	v_fma_f16 v77, v24, 0xb93d, -v54
	v_fmamk_f16 v78, v25, 0xb93d, v55
	v_fmac_f16_e32 v54, 0xb93d, v24
	v_fma_f16 v55, v25, 0xb93d, -v55
	v_fma_f16 v79, v24, 0xbbad, -v56
	v_fmamk_f16 v80, v25, 0xbbad, v57
	v_fmac_f16_e32 v56, 0xbbad, v24
	v_fma_f16 v57, v25, 0xbbad, -v57
	;; [unrolled: 4-line block ×7, first 2 shown]
	v_fma_f16 v89, v28, 0x3abb, -v66
	v_add_f16_e32 v16, v16, v22
	v_add_f16_e32 v17, v17, v22
	;; [unrolled: 1-line block ×10, first 2 shown]
	v_fmamk_f16 v23, v29, 0x3abb, v67
	v_fmac_f16_e32 v66, 0x3abb, v28
	v_fma_f16 v67, v29, 0x3abb, -v67
	v_fma_f16 v90, v28, 0xb93d, -v31
	v_fmac_f16_e32 v31, 0xb93d, v28
	v_fmamk_f16 v28, v29, 0xb93d, v30
	v_fma_f16 v29, v29, 0xb93d, -v30
	v_mul_f16_e32 v30, 0xba0c, v34
	v_add_f16_e32 v19, v19, v39
	v_add_f16_e32 v21, v21, v42
	;; [unrolled: 1-line block ×5, first 2 shown]
	v_sub_f16_e32 v35, v43, v46
	v_add_f16_e32 v16, v20, v16
	v_fmamk_f16 v20, v33, 0xb93d, v30
	v_fma_f16 v30, v33, 0xb93d, -v30
	v_add_f16_e32 v19, v24, v19
	v_add_f16_e32 v21, v26, v21
	;; [unrolled: 1-line block ×6, first 2 shown]
	v_mul_f16_e32 v10, 0x3beb, v35
	v_add_f16_e32 v70, v70, v39
	v_add_f16_e32 v38, v38, v39
	;; [unrolled: 1-line block ×13, first 2 shown]
	v_mul_f16_e32 v24, 0xb853, v35
	v_mul_f16_e32 v43, 0x3beb, v34
	v_add_f16_e32 v74, v74, v39
	v_fma_f16 v42, v32, 0xb08e, -v10
	v_add_f16_e32 v53, v78, v70
	v_add_f16_e32 v38, v55, v38
	;; [unrolled: 1-line block ×11, first 2 shown]
	v_lshlrev_b32_e32 v9, 16, v9
	v_and_b32_e32 v8, 0xffff, v8
	v_fmac_f16_e32 v10, 0xb08e, v32
	v_mul_f16_e32 v29, 0xb853, v34
	v_fma_f16 v30, v32, 0x3abb, -v24
	v_add_f16_e32 v72, v72, v39
	v_add_f16_e32 v57, v82, v74
	;; [unrolled: 1-line block ×6, first 2 shown]
	v_or_b32_e32 v8, v9, v8
	v_add_f16_e32 v9, v42, v25
	v_fmamk_f16 v25, v33, 0xb08e, v43
	v_fma_f16 v28, v33, 0xb08e, -v43
	v_add_f16_e32 v10, v10, v27
	v_fmamk_f16 v27, v33, 0x3abb, v29
	v_add_f16_e32 v13, v30, v13
	v_fma_f16 v29, v33, 0x3abb, -v29
	v_mul_f16_e32 v30, 0xb482, v34
	v_mul_f16_e32 v68, 0xba0c, v35
	v_add_f16_e32 v55, v80, v72
	v_add_f16_e32 v50, v58, v50
	v_add_f16_e32 v58, v83, v75
	v_add_f16_e32 v23, v23, v57
	v_add_f16_e32 v25, v25, v26
	v_add_f16_e32 v26, v28, v36
	v_mul_f16_e32 v28, 0xb482, v35
	v_add_f16_e32 v14, v29, v14
	v_mul_f16_e32 v29, 0x3b47, v35
	v_fmamk_f16 v35, v33, 0xbbad, v30
	v_fma_f16 v39, v32, 0xb93d, -v68
	v_fmac_f16_e32 v68, 0xb93d, v32
	v_add_f16_e32 v37, v88, v55
	v_add_f16_e32 v15, v66, v50
	;; [unrolled: 1-line block ×5, first 2 shown]
	v_fmac_f16_e32 v24, 0x3abb, v32
	v_fma_f16 v31, v32, 0xbbad, -v28
	v_fmac_f16_e32 v28, 0xbbad, v32
	v_fma_f16 v30, v33, 0xbbad, -v30
	v_fma_f16 v36, v32, 0x36a6, -v29
	v_add_f16_e32 v23, v35, v23
	v_mul_f16_e32 v34, 0x3b47, v34
	v_sub_f16_e32 v35, v44, v45
	v_fmac_f16_e32 v29, 0x36a6, v32
	v_sub_f16_e32 v32, v11, v12
	v_add_f16_e32 v27, v27, v37
	v_add_f16_e32 v15, v28, v15
	v_add_f16_e32 v28, v30, v41
	v_add_f16_e32 v30, v36, v46
	v_fmamk_f16 v36, v33, 0x36a6, v34
	v_add_f16_e32 v11, v11, v12
	v_mul_f16_e32 v12, 0xb482, v35
	v_fma_f16 v33, v33, 0x36a6, -v34
	v_add_f16_e32 v34, v44, v45
	v_mul_f16_e32 v37, 0xb482, v32
	v_add_f16_e32 v40, v56, v40
	v_add_f16_e32 v17, v60, v17
	;; [unrolled: 1-line block ×4, first 2 shown]
	v_fma_f16 v36, v11, 0xbbad, -v12
	v_add_f16_e32 v22, v29, v22
	v_add_f16_e32 v19, v33, v19
	v_fmamk_f16 v29, v34, 0xbbad, v37
	v_mul_f16_e32 v33, 0x3853, v35
	v_add_f16_e32 v38, v64, v40
	v_add_f16_e32 v17, v68, v17
	;; [unrolled: 1-line block ×3, first 2 shown]
	v_fmac_f16_e32 v12, 0xbbad, v11
	v_fma_f16 v36, v34, 0xbbad, -v37
	v_add_f16_e32 v20, v29, v20
	v_fma_f16 v29, v11, 0x3abb, -v33
	v_mul_f16_e32 v37, 0x3853, v32
	v_add_f16_e32 v56, v81, v73
	v_add_f16_e32 v24, v24, v38
	;; [unrolled: 1-line block ×4, first 2 shown]
	v_mul_f16_e32 v21, 0xba0c, v35
	v_add_f16_e32 v9, v29, v9
	v_fmamk_f16 v29, v34, 0x3abb, v37
	v_fmac_f16_e32 v33, 0x3abb, v11
	v_mul_f16_e32 v38, 0xba0c, v32
	v_add_f16_e32 v40, v89, v56
	v_fma_f16 v36, v34, 0x3abb, -v37
	v_fma_f16 v37, v11, 0xb93d, -v21
	v_add_f16_e32 v25, v29, v25
	v_add_f16_e32 v10, v33, v10
	v_fmamk_f16 v29, v34, 0xb93d, v38
	v_mul_f16_e32 v33, 0x3b47, v35
	v_add_f16_e32 v31, v31, v40
	v_add_f16_e32 v13, v37, v13
	v_fmac_f16_e32 v21, 0xb93d, v11
	v_mul_f16_e32 v37, 0x3b47, v32
	v_add_f16_e32 v27, v29, v27
	v_fma_f16 v29, v11, 0x36a6, -v33
	v_fmac_f16_e32 v33, 0x36a6, v11
	v_add_f16_e32 v21, v21, v24
	v_fmamk_f16 v24, v34, 0x36a6, v37
	v_mul_f16_e32 v32, 0xbbeb, v32
	v_add_f16_e32 v29, v29, v31
	v_mul_f16_e32 v31, 0xbbeb, v35
	v_add_f16_e32 v15, v33, v15
	v_add_f16_e32 v23, v24, v23
	v_fma_f16 v24, v34, 0x36a6, -v37
	v_fmamk_f16 v35, v34, 0xb08e, v32
	v_fma_f16 v33, v11, 0xb08e, -v31
	v_fmac_f16_e32 v31, 0xb08e, v11
	v_fma_f16 v11, v34, 0xb08e, -v32
	v_add_f16_e32 v26, v36, v26
	v_fma_f16 v36, v34, 0xb93d, -v38
	v_pack_b32_f16 v16, v16, v20
	v_add_f16_e32 v24, v24, v28
	v_add_f16_e32 v28, v33, v30
	;; [unrolled: 1-line block ×6, first 2 shown]
	ds_store_2addr_b32 v1, v8, v16 offset1:121
	v_pack_b32_f16 v8, v9, v25
	v_pack_b32_f16 v9, v13, v27
	v_pack_b32_f16 v13, v29, v23
	v_pack_b32_f16 v16, v28, v18
	v_pack_b32_f16 v11, v22, v11
	v_pack_b32_f16 v15, v15, v24
	v_pack_b32_f16 v14, v21, v14
	v_pack_b32_f16 v10, v10, v26
	v_pack_b32_f16 v12, v12, v17
	ds_store_2addr_b32 v4, v8, v9 offset0:114 offset1:235
	ds_store_2addr_b32 v5, v13, v16 offset0:100 offset1:221
	;; [unrolled: 1-line block ×4, first 2 shown]
	ds_store_b32 v1, v12 offset:4840
	v_mul_lo_u32 v1, v0, s10
	global_wb scope:SCOPE_SE
	s_wait_dscnt 0x0
	s_barrier_signal -1
	s_barrier_wait -1
	global_inv scope:SCOPE_SE
	ds_load_2addr_b32 v[4:5], v3 offset1:121
	v_add_nc_u32_e32 v10, 0x200, v3
	v_add_nc_u32_e32 v16, 0xe00, v3
	v_lshlrev_b64_e32 v[6:7], 2, v[1:2]
	v_add_nc_u32_e32 v1, s6, v1
	ds_load_2addr_b32 v[10:11], v10 offset0:114 offset1:235
	v_lshlrev_b64_e32 v[8:9], 2, v[1:2]
	v_add_nc_u32_e32 v1, s6, v1
	s_wait_alu 0xfffe
	v_add_co_u32 v6, vcc_lo, s0, v6
	s_wait_alu 0xfffd
	v_add_co_ci_u32_e32 v7, vcc_lo, s1, v7, vcc_lo
	v_add_co_u32 v8, vcc_lo, s0, v8
	v_lshlrev_b64_e32 v[12:13], 2, v[1:2]
	v_add_nc_u32_e32 v1, s6, v1
	s_wait_alu 0xfffd
	v_add_co_ci_u32_e32 v9, vcc_lo, s1, v9, vcc_lo
	s_wait_dscnt 0x1
	s_clause 0x1
	global_store_b32 v[6:7], v4, off
	global_store_b32 v[8:9], v5, off
	v_lshlrev_b64_e32 v[4:5], 2, v[1:2]
	v_add_co_u32 v6, vcc_lo, s0, v12
	s_wait_alu 0xfffd
	v_add_co_ci_u32_e32 v7, vcc_lo, s1, v13, vcc_lo
	v_add_nc_u32_e32 v1, s6, v1
	s_delay_alu instid0(VALU_DEP_4)
	v_add_co_u32 v4, vcc_lo, s0, v4
	s_wait_alu 0xfffd
	v_add_co_ci_u32_e32 v5, vcc_lo, s1, v5, vcc_lo
	v_add_nc_u32_e32 v12, 0x600, v3
	s_wait_dscnt 0x0
	global_store_b32 v[6:7], v10, off
	v_add_nc_u32_e32 v10, 0xa00, v3
	v_lshlrev_b64_e32 v[8:9], 2, v[1:2]
	v_add_nc_u32_e32 v1, s6, v1
	global_store_b32 v[4:5], v11, off
	ds_load_2addr_b32 v[4:5], v12 offset0:100 offset1:221
	ds_load_2addr_b32 v[10:11], v10 offset0:86 offset1:207
	v_lshlrev_b64_e32 v[6:7], 2, v[1:2]
	v_add_nc_u32_e32 v1, s6, v1
	v_add_co_u32 v8, vcc_lo, s0, v8
	s_wait_alu 0xfffd
	v_add_co_ci_u32_e32 v9, vcc_lo, s1, v9, vcc_lo
	s_delay_alu instid0(VALU_DEP_3) | instskip(SKIP_4) | instid1(VALU_DEP_4)
	v_lshlrev_b64_e32 v[12:13], 2, v[1:2]
	v_add_nc_u32_e32 v1, s6, v1
	v_add_co_u32 v6, vcc_lo, s0, v6
	s_wait_alu 0xfffd
	v_add_co_ci_u32_e32 v7, vcc_lo, s1, v7, vcc_lo
	v_add_co_u32 v12, vcc_lo, s0, v12
	v_lshlrev_b64_e32 v[14:15], 2, v[1:2]
	v_add_nc_u32_e32 v1, s6, v1
	s_wait_alu 0xfffd
	v_add_co_ci_u32_e32 v13, vcc_lo, s1, v13, vcc_lo
	s_wait_dscnt 0x1
	s_clause 0x1
	global_store_b32 v[8:9], v4, off
	global_store_b32 v[6:7], v5, off
	s_wait_dscnt 0x0
	global_store_b32 v[12:13], v10, off
	v_lshlrev_b64_e32 v[6:7], 2, v[1:2]
	v_add_nc_u32_e32 v1, s6, v1
	ds_load_2addr_b32 v[4:5], v16 offset0:72 offset1:193
	ds_load_b32 v3, v3 offset:4840
	v_add_co_u32 v8, vcc_lo, s0, v14
	v_lshlrev_b64_e32 v[12:13], 2, v[1:2]
	v_add_nc_u32_e32 v1, s6, v1
	s_wait_alu 0xfffd
	v_add_co_ci_u32_e32 v9, vcc_lo, s1, v15, vcc_lo
	v_add_co_u32 v6, vcc_lo, s0, v6
	s_delay_alu instid0(VALU_DEP_3)
	v_lshlrev_b64_e32 v[14:15], 2, v[1:2]
	s_wait_alu 0xfffd
	v_add_co_ci_u32_e32 v7, vcc_lo, s1, v7, vcc_lo
	v_add_co_u32 v12, vcc_lo, s0, v12
	s_wait_alu 0xfffd
	v_add_co_ci_u32_e32 v13, vcc_lo, s1, v13, vcc_lo
	v_add_co_u32 v14, vcc_lo, s0, v14
	s_wait_alu 0xfffd
	v_add_co_ci_u32_e32 v15, vcc_lo, s1, v15, vcc_lo
	global_store_b32 v[8:9], v11, off
	s_wait_dscnt 0x1
	s_clause 0x1
	global_store_b32 v[6:7], v4, off
	global_store_b32 v[12:13], v5, off
	s_wait_dscnt 0x0
	global_store_b32 v[14:15], v3, off
	v_cmpx_eq_u32_e32 0, v0
	s_cbranch_execz .LBB0_2
; %bb.1:
	ds_load_b32 v0, v2 offset:5324
	s_mul_i32 s24, s10, 0x533
	s_delay_alu instid0(SALU_CYCLE_1)
	s_lshl_b64 s[2:3], s[24:25], 2
	s_wait_alu 0xfffe
	s_add_nc_u64 s[0:1], s[0:1], s[2:3]
	s_wait_dscnt 0x0
	global_store_b32 v2, v0, s[0:1]
.LBB0_2:
	s_nop 0
	s_sendmsg sendmsg(MSG_DEALLOC_VGPRS)
	s_endpgm
	.section	.rodata,"a",@progbits
	.p2align	6, 0x0
	.amdhsa_kernel fft_rtc_fwd_len1331_factors_11_11_11_wgs_121_tpt_121_half_op_CI_CI_sbrc_erc_z_xy_aligned_dirReg
		.amdhsa_group_segment_fixed_size 0
		.amdhsa_private_segment_fixed_size 0
		.amdhsa_kernarg_size 104
		.amdhsa_user_sgpr_count 2
		.amdhsa_user_sgpr_dispatch_ptr 0
		.amdhsa_user_sgpr_queue_ptr 0
		.amdhsa_user_sgpr_kernarg_segment_ptr 1
		.amdhsa_user_sgpr_dispatch_id 0
		.amdhsa_user_sgpr_private_segment_size 0
		.amdhsa_wavefront_size32 1
		.amdhsa_uses_dynamic_stack 0
		.amdhsa_enable_private_segment 0
		.amdhsa_system_sgpr_workgroup_id_x 1
		.amdhsa_system_sgpr_workgroup_id_y 0
		.amdhsa_system_sgpr_workgroup_id_z 0
		.amdhsa_system_sgpr_workgroup_info 0
		.amdhsa_system_vgpr_workitem_id 0
		.amdhsa_next_free_vgpr 91
		.amdhsa_next_free_sgpr 36
		.amdhsa_reserve_vcc 1
		.amdhsa_float_round_mode_32 0
		.amdhsa_float_round_mode_16_64 0
		.amdhsa_float_denorm_mode_32 3
		.amdhsa_float_denorm_mode_16_64 3
		.amdhsa_fp16_overflow 0
		.amdhsa_workgroup_processor_mode 1
		.amdhsa_memory_ordered 1
		.amdhsa_forward_progress 0
		.amdhsa_round_robin_scheduling 0
		.amdhsa_exception_fp_ieee_invalid_op 0
		.amdhsa_exception_fp_denorm_src 0
		.amdhsa_exception_fp_ieee_div_zero 0
		.amdhsa_exception_fp_ieee_overflow 0
		.amdhsa_exception_fp_ieee_underflow 0
		.amdhsa_exception_fp_ieee_inexact 0
		.amdhsa_exception_int_div_zero 0
	.end_amdhsa_kernel
	.text
.Lfunc_end0:
	.size	fft_rtc_fwd_len1331_factors_11_11_11_wgs_121_tpt_121_half_op_CI_CI_sbrc_erc_z_xy_aligned_dirReg, .Lfunc_end0-fft_rtc_fwd_len1331_factors_11_11_11_wgs_121_tpt_121_half_op_CI_CI_sbrc_erc_z_xy_aligned_dirReg
                                        ; -- End function
	.section	.AMDGPU.csdata,"",@progbits
; Kernel info:
; codeLenInByte = 10488
; NumSgprs: 38
; NumVgprs: 91
; ScratchSize: 0
; MemoryBound: 0
; FloatMode: 240
; IeeeMode: 1
; LDSByteSize: 0 bytes/workgroup (compile time only)
; SGPRBlocks: 4
; VGPRBlocks: 11
; NumSGPRsForWavesPerEU: 38
; NumVGPRsForWavesPerEU: 91
; Occupancy: 16
; WaveLimiterHint : 1
; COMPUTE_PGM_RSRC2:SCRATCH_EN: 0
; COMPUTE_PGM_RSRC2:USER_SGPR: 2
; COMPUTE_PGM_RSRC2:TRAP_HANDLER: 0
; COMPUTE_PGM_RSRC2:TGID_X_EN: 1
; COMPUTE_PGM_RSRC2:TGID_Y_EN: 0
; COMPUTE_PGM_RSRC2:TGID_Z_EN: 0
; COMPUTE_PGM_RSRC2:TIDIG_COMP_CNT: 0
	.text
	.p2alignl 7, 3214868480
	.fill 96, 4, 3214868480
	.type	__hip_cuid_5c7ff0a7ca9aa077,@object ; @__hip_cuid_5c7ff0a7ca9aa077
	.section	.bss,"aw",@nobits
	.globl	__hip_cuid_5c7ff0a7ca9aa077
__hip_cuid_5c7ff0a7ca9aa077:
	.byte	0                               ; 0x0
	.size	__hip_cuid_5c7ff0a7ca9aa077, 1

	.ident	"AMD clang version 19.0.0git (https://github.com/RadeonOpenCompute/llvm-project roc-6.4.0 25133 c7fe45cf4b819c5991fe208aaa96edf142730f1d)"
	.section	".note.GNU-stack","",@progbits
	.addrsig
	.addrsig_sym __hip_cuid_5c7ff0a7ca9aa077
	.amdgpu_metadata
---
amdhsa.kernels:
  - .args:
      - .actual_access:  read_only
        .address_space:  global
        .offset:         0
        .size:           8
        .value_kind:     global_buffer
      - .offset:         8
        .size:           8
        .value_kind:     by_value
      - .actual_access:  read_only
        .address_space:  global
        .offset:         16
        .size:           8
        .value_kind:     global_buffer
      - .actual_access:  read_only
        .address_space:  global
        .offset:         24
        .size:           8
        .value_kind:     global_buffer
      - .actual_access:  read_only
        .address_space:  global
        .offset:         32
        .size:           8
        .value_kind:     global_buffer
      - .offset:         40
        .size:           8
        .value_kind:     by_value
      - .actual_access:  read_only
        .address_space:  global
        .offset:         48
        .size:           8
        .value_kind:     global_buffer
      - .actual_access:  read_only
        .address_space:  global
        .offset:         56
        .size:           8
        .value_kind:     global_buffer
      - .offset:         64
        .size:           4
        .value_kind:     by_value
      - .actual_access:  read_only
        .address_space:  global
        .offset:         72
        .size:           8
        .value_kind:     global_buffer
      - .actual_access:  read_only
        .address_space:  global
        .offset:         80
        .size:           8
        .value_kind:     global_buffer
      - .actual_access:  read_only
        .address_space:  global
        .offset:         88
        .size:           8
        .value_kind:     global_buffer
      - .actual_access:  write_only
        .address_space:  global
        .offset:         96
        .size:           8
        .value_kind:     global_buffer
    .group_segment_fixed_size: 0
    .kernarg_segment_align: 8
    .kernarg_segment_size: 104
    .language:       OpenCL C
    .language_version:
      - 2
      - 0
    .max_flat_workgroup_size: 121
    .name:           fft_rtc_fwd_len1331_factors_11_11_11_wgs_121_tpt_121_half_op_CI_CI_sbrc_erc_z_xy_aligned_dirReg
    .private_segment_fixed_size: 0
    .sgpr_count:     38
    .sgpr_spill_count: 0
    .symbol:         fft_rtc_fwd_len1331_factors_11_11_11_wgs_121_tpt_121_half_op_CI_CI_sbrc_erc_z_xy_aligned_dirReg.kd
    .uniform_work_group_size: 1
    .uses_dynamic_stack: false
    .vgpr_count:     91
    .vgpr_spill_count: 0
    .wavefront_size: 32
    .workgroup_processor_mode: 1
amdhsa.target:   amdgcn-amd-amdhsa--gfx1201
amdhsa.version:
  - 1
  - 2
...

	.end_amdgpu_metadata
